;; amdgpu-corpus repo=ROCm/rocFFT kind=compiled arch=gfx906 opt=O3
	.text
	.amdgcn_target "amdgcn-amd-amdhsa--gfx906"
	.amdhsa_code_object_version 6
	.protected	bluestein_single_fwd_len84_dim1_sp_op_CI_CI ; -- Begin function bluestein_single_fwd_len84_dim1_sp_op_CI_CI
	.globl	bluestein_single_fwd_len84_dim1_sp_op_CI_CI
	.p2align	8
	.type	bluestein_single_fwd_len84_dim1_sp_op_CI_CI,@function
bluestein_single_fwd_len84_dim1_sp_op_CI_CI: ; @bluestein_single_fwd_len84_dim1_sp_op_CI_CI
; %bb.0:
	v_mul_u32_u24_e32 v1, 0x1556, v0
	s_load_dwordx4 s[16:19], s[4:5], 0x28
	v_lshrrev_b32_e32 v1, 16, v1
	v_mad_u64_u32 v[42:43], s[0:1], s6, 10, v[1:2]
	v_mov_b32_e32 v43, 0
	s_waitcnt lgkmcnt(0)
	v_cmp_gt_u64_e32 vcc, s[16:17], v[42:43]
	s_and_saveexec_b64 s[0:1], vcc
	s_cbranch_execz .LBB0_18
; %bb.1:
	s_load_dwordx4 s[0:3], s[4:5], 0x18
	s_load_dwordx4 s[12:15], s[4:5], 0x0
	v_mul_lo_u16_e32 v1, 12, v1
	v_sub_u16_e32 v72, v0, v1
	v_or_b32_e32 v71, 48, v72
	s_waitcnt lgkmcnt(0)
	s_load_dwordx4 s[8:11], s[0:1], 0x0
	v_lshlrev_b32_e32 v20, 3, v72
	s_load_dwordx2 s[4:5], s[4:5], 0x38
	s_waitcnt lgkmcnt(0)
	v_mad_u64_u32 v[0:1], s[0:1], s10, v42, 0
	v_mad_u64_u32 v[2:3], s[0:1], s8, v72, 0
	s_mul_i32 s7, s8, 0x60
	v_mad_u64_u32 v[4:5], s[0:1], s11, v42, v[1:2]
	v_mad_u64_u32 v[5:6], s[0:1], s9, v72, v[3:4]
	v_mov_b32_e32 v1, v4
	v_lshlrev_b64 v[0:1], 3, v[0:1]
	v_mov_b32_e32 v6, s19
	v_mov_b32_e32 v3, v5
	v_add_co_u32_e32 v16, vcc, s18, v0
	v_addc_co_u32_e32 v17, vcc, v6, v1, vcc
	v_lshlrev_b64 v[0:1], 3, v[2:3]
	s_mul_i32 s0, s9, 0x60
	v_add_co_u32_e32 v0, vcc, v16, v0
	s_mul_hi_u32 s1, s8, 0x60
	v_addc_co_u32_e32 v1, vcc, v17, v1, vcc
	s_add_i32 s6, s1, s0
	global_load_dwordx2 v[2:3], v[0:1], off
	v_mov_b32_e32 v4, s6
	v_add_co_u32_e32 v0, vcc, s7, v0
	v_addc_co_u32_e32 v1, vcc, v1, v4, vcc
	v_mad_u64_u32 v[8:9], s[0:1], s8, v71, 0
	v_mov_b32_e32 v5, s6
	v_add_co_u32_e32 v4, vcc, s7, v0
	v_addc_co_u32_e32 v5, vcc, v1, v5, vcc
	v_mov_b32_e32 v7, s6
	v_add_co_u32_e32 v6, vcc, s7, v4
	v_addc_co_u32_e32 v7, vcc, v5, v7, vcc
	global_load_dwordx2 v[10:11], v[0:1], off
	global_load_dwordx2 v[12:13], v[4:5], off
	;; [unrolled: 1-line block ×3, first 2 shown]
	v_mov_b32_e32 v0, v9
	v_mad_u64_u32 v[0:1], s[0:1], s9, v71, v[0:1]
	global_load_dwordx2 v[55:56], v20, s[12:13]
	v_mov_b32_e32 v4, 0xc0
	v_mov_b32_e32 v9, v0
	v_lshlrev_b64 v[0:1], 3, v[8:9]
	global_load_dwordx2 v[53:54], v20, s[12:13] offset:96
	global_load_dwordx2 v[51:52], v20, s[12:13] offset:192
	;; [unrolled: 1-line block ×3, first 2 shown]
	v_mad_u64_u32 v[4:5], s[0:1], s8, v4, v[6:7]
	v_add_co_u32_e32 v0, vcc, v16, v0
	v_addc_co_u32_e32 v1, vcc, v17, v1, vcc
	global_load_dwordx2 v[0:1], v[0:1], off
	s_mul_i32 s0, s9, 0xc0
	v_add_u32_e32 v5, s0, v5
	global_load_dwordx2 v[49:50], v20, s[12:13] offset:384
	global_load_dwordx2 v[6:7], v[4:5], off
	global_load_dwordx2 v[45:46], v20, s[12:13] offset:480
	v_mov_b32_e32 v8, s6
	v_add_co_u32_e32 v4, vcc, s7, v4
	v_addc_co_u32_e32 v5, vcc, v5, v8, vcc
	global_load_dwordx2 v[43:44], v20, s[12:13] offset:576
	global_load_dwordx2 v[8:9], v[4:5], off
	s_mov_b32 s0, 0xcccccccd
	v_mul_hi_u32 v4, v42, s0
	s_load_dwordx4 s[8:11], s[2:3], 0x0
	s_mov_b32 s1, 0x3f3bfb3b
	s_mov_b32 s0, 0x3f5ff5aa
	v_lshrrev_b32_e32 v4, 3, v4
	v_mul_lo_u32 v4, v4, 10
	v_cmp_gt_u16_e32 vcc, 6, v72
	v_sub_u32_e32 v4, v42, v4
	v_mul_u32_u24_e32 v4, 0x54, v4
	v_lshlrev_b32_e32 v74, 3, v4
	v_add_u32_e32 v73, v20, v74
	s_waitcnt vmcnt(9)
	v_mul_f32_e32 v4, v3, v56
	v_mul_f32_e32 v5, v2, v56
	v_fmac_f32_e32 v4, v2, v55
	v_fma_f32 v5, v3, v55, -v5
	s_waitcnt vmcnt(8)
	v_mul_f32_e32 v2, v11, v54
	v_mul_f32_e32 v3, v10, v54
	v_fmac_f32_e32 v2, v10, v53
	v_fma_f32 v3, v11, v53, -v3
	s_waitcnt vmcnt(7)
	v_mul_f32_e32 v10, v13, v52
	v_mul_f32_e32 v11, v12, v52
	ds_write2_b64 v73, v[4:5], v[2:3] offset1:12
	s_waitcnt vmcnt(6)
	v_mul_f32_e32 v2, v15, v48
	v_mul_f32_e32 v3, v14, v48
	v_fmac_f32_e32 v10, v12, v51
	v_fma_f32 v11, v13, v51, -v11
	v_fmac_f32_e32 v2, v14, v47
	v_fma_f32 v3, v15, v47, -v3
	ds_write2_b64 v73, v[10:11], v[2:3] offset0:24 offset1:36
	s_waitcnt vmcnt(4)
	v_mul_f32_e32 v2, v1, v50
	v_fmac_f32_e32 v2, v0, v49
	v_mul_f32_e32 v0, v0, v50
	v_fma_f32 v3, v1, v49, -v0
	s_waitcnt vmcnt(2)
	v_mul_f32_e32 v0, v7, v46
	v_mul_f32_e32 v1, v6, v46
	v_fmac_f32_e32 v0, v6, v45
	v_fma_f32 v1, v7, v45, -v1
	ds_write2_b64 v73, v[2:3], v[0:1] offset0:48 offset1:60
	s_waitcnt vmcnt(0)
	v_mul_f32_e32 v0, v9, v44
	v_mul_f32_e32 v1, v8, v44
	v_fmac_f32_e32 v0, v8, v43
	v_fma_f32 v1, v9, v43, -v1
	ds_write_b64 v73, v[0:1] offset:576
	s_waitcnt lgkmcnt(0)
	s_barrier
	ds_read2_b64 v[0:3], v73 offset1:12
	ds_read_b64 v[12:13], v73 offset:576
	ds_read2_b64 v[4:7], v73 offset0:24 offset1:36
	ds_read2_b64 v[8:11], v73 offset0:48 offset1:60
	s_waitcnt lgkmcnt(0)
	s_barrier
	v_add_f32_e32 v14, v2, v12
	v_sub_f32_e32 v2, v2, v12
	v_add_f32_e32 v12, v4, v10
	v_add_f32_e32 v15, v3, v13
	v_sub_f32_e32 v3, v3, v13
	v_add_f32_e32 v13, v5, v11
	v_sub_f32_e32 v4, v4, v10
	;; [unrolled: 2-line block ×5, first 2 shown]
	v_add_f32_e32 v9, v13, v15
	v_add_f32_e32 v18, v6, v4
	;; [unrolled: 1-line block ×3, first 2 shown]
	v_sub_f32_e32 v17, v13, v15
	v_sub_f32_e32 v15, v15, v11
	;; [unrolled: 1-line block ×3, first 2 shown]
	v_add_f32_e32 v19, v7, v5
	v_sub_f32_e32 v21, v6, v4
	v_sub_f32_e32 v6, v2, v6
	;; [unrolled: 1-line block ×3, first 2 shown]
	v_add_f32_e32 v9, v11, v9
	v_add_f32_e32 v11, v18, v2
	;; [unrolled: 1-line block ×3, first 2 shown]
	v_sub_f32_e32 v16, v12, v14
	v_sub_f32_e32 v14, v14, v10
	;; [unrolled: 1-line block ×6, first 2 shown]
	v_add_f32_e32 v18, v19, v3
	v_add_f32_e32 v3, v1, v9
	v_mov_b32_e32 v23, v2
	v_mul_f32_e32 v0, 0x3f4a47b2, v14
	v_mul_f32_e32 v1, 0x3f4a47b2, v15
	;; [unrolled: 1-line block ×4, first 2 shown]
	v_fmac_f32_e32 v23, 0xbf955555, v8
	v_mov_b32_e32 v8, v3
	v_mul_f32_e32 v19, 0xbf08b237, v21
	v_mul_f32_e32 v21, 0xbf08b237, v10
	v_fmac_f32_e32 v8, 0xbf955555, v9
	v_fma_f32 v9, v16, s1, -v14
	v_fma_f32 v14, v17, s1, -v15
	s_mov_b32 s1, 0xbf3bfb3b
	v_mul_f32_e32 v10, 0x3f5ff5aa, v4
	v_mul_f32_e32 v22, 0x3f5ff5aa, v5
	v_fma_f32 v15, v16, s1, -v0
	v_fmac_f32_e32 v0, 0x3d64c772, v12
	v_fma_f32 v12, v17, s1, -v1
	v_fmac_f32_e32 v1, 0x3d64c772, v13
	v_fma_f32 v13, v4, s0, -v19
	v_fma_f32 v16, v5, s0, -v21
	s_mov_b32 s0, 0xbeae86e6
	v_fmac_f32_e32 v19, 0x3eae86e6, v6
	v_fmac_f32_e32 v21, 0x3eae86e6, v7
	v_fma_f32 v17, v6, s0, -v10
	v_fma_f32 v22, v7, s0, -v22
	v_add_f32_e32 v14, v14, v8
	v_fmac_f32_e32 v13, 0x3ee1c552, v11
	v_add_f32_e32 v0, v0, v23
	v_add_f32_e32 v1, v1, v8
	;; [unrolled: 1-line block ×5, first 2 shown]
	v_fmac_f32_e32 v19, 0x3ee1c552, v11
	v_fmac_f32_e32 v21, 0x3ee1c552, v18
	;; [unrolled: 1-line block ×5, first 2 shown]
	v_add_f32_e32 v9, v13, v14
	v_sub_f32_e32 v11, v14, v13
	v_mul_lo_u16_e32 v14, 7, v72
	v_add_f32_e32 v4, v0, v21
	v_sub_f32_e32 v5, v1, v19
	v_add_f32_e32 v6, v22, v15
	v_sub_f32_e32 v7, v23, v17
	v_sub_f32_e32 v8, v10, v16
	v_add_f32_e32 v10, v16, v10
	v_sub_f32_e32 v12, v15, v22
	v_add_f32_e32 v13, v17, v23
	v_lshl_add_u32 v75, v14, 3, v74
	v_sub_f32_e32 v0, v0, v21
	v_add_f32_e32 v1, v19, v1
	ds_write2_b64 v75, v[2:3], v[4:5] offset1:1
	ds_write2_b64 v75, v[6:7], v[8:9] offset0:2 offset1:3
	ds_write2_b64 v75, v[10:11], v[12:13] offset0:4 offset1:5
	ds_write_b64 v75, v[0:1] offset:48
	s_waitcnt lgkmcnt(0)
	s_barrier
	ds_read2_b64 v[4:7], v73 offset1:12
	ds_read2_b64 v[8:11], v73 offset0:24 offset1:42
	ds_read2_b64 v[12:15], v73 offset0:54 offset1:66
	s_and_saveexec_b64 s[0:1], vcc
	s_cbranch_execz .LBB0_3
; %bb.2:
	ds_read2_b64 v[0:3], v73 offset0:36 offset1:78
.LBB0_3:
	s_or_b64 exec, exec, s[0:1]
	v_add_co_u32_e64 v21, s[0:1], 12, v72
	v_add_co_u32_e64 v16, s[0:1], -7, v72
	v_addc_co_u32_e64 v17, s[0:1], 0, -1, s[0:1]
	v_cmp_gt_u16_e64 s[0:1], 7, v72
	v_cndmask_b32_e64 v18, v17, 0, s[0:1]
	v_cndmask_b32_e64 v17, v16, v72, s[0:1]
	v_lshlrev_b64 v[18:19], 3, v[17:18]
	v_mov_b32_e32 v16, s15
	v_add_co_u32_e64 v18, s[0:1], s14, v18
	v_addc_co_u32_e64 v19, s[0:1], v16, v19, s[0:1]
	v_mov_b32_e32 v16, 37
	v_mul_lo_u16_sdwa v22, v21, v16 dst_sel:DWORD dst_unused:UNUSED_PAD src0_sel:BYTE_0 src1_sel:DWORD
	v_sub_u16_sdwa v23, v21, v22 dst_sel:DWORD dst_unused:UNUSED_PAD src0_sel:DWORD src1_sel:BYTE_1
	v_lshrrev_b16_e32 v23, 1, v23
	v_add_u16_e32 v26, 24, v72
	v_and_b32_e32 v23, 0x7f, v23
	v_mul_lo_u16_sdwa v27, v26, v16 dst_sel:DWORD dst_unused:UNUSED_PAD src0_sel:BYTE_0 src1_sel:DWORD
	v_add_u16_sdwa v22, v23, v22 dst_sel:DWORD dst_unused:UNUSED_PAD src0_sel:DWORD src1_sel:BYTE_1
	v_sub_u16_sdwa v28, v26, v27 dst_sel:DWORD dst_unused:UNUSED_PAD src0_sel:DWORD src1_sel:BYTE_1
	v_lshrrev_b16_e32 v22, 2, v22
	v_lshrrev_b16_e32 v28, 1, v28
	v_mul_lo_u16_e32 v23, 7, v22
	v_and_b32_e32 v28, 0x7f, v28
	v_sub_u16_e32 v23, v21, v23
	v_mov_b32_e32 v24, 3
	v_add_u16_sdwa v27, v28, v27 dst_sel:DWORD dst_unused:UNUSED_PAD src0_sel:DWORD src1_sel:BYTE_1
	v_lshlrev_b32_sdwa v25, v24, v23 dst_sel:DWORD dst_unused:UNUSED_PAD src0_sel:DWORD src1_sel:BYTE_0
	v_lshrrev_b16_e32 v27, 2, v27
	global_load_dwordx2 v[59:60], v[18:19], off
	global_load_dwordx2 v[65:66], v25, s[14:15]
	v_mul_lo_u16_e32 v18, 7, v27
	v_sub_u16_e32 v18, v26, v18
	v_lshlrev_b32_sdwa v19, v24, v18 dst_sel:DWORD dst_unused:UNUSED_PAD src0_sel:DWORD src1_sel:BYTE_0
	global_load_dwordx2 v[61:62], v19, s[14:15]
	v_add_u16_e32 v24, 36, v72
	v_mul_lo_u16_sdwa v16, v24, v16 dst_sel:DWORD dst_unused:UNUSED_PAD src0_sel:BYTE_0 src1_sel:DWORD
	v_sub_u16_sdwa v26, v24, v16 dst_sel:DWORD dst_unused:UNUSED_PAD src0_sel:DWORD src1_sel:BYTE_1
	v_lshrrev_b16_e32 v26, 1, v26
	v_and_b32_e32 v26, 0x7f, v26
	v_add_u16_sdwa v16, v26, v16 dst_sel:DWORD dst_unused:UNUSED_PAD src0_sel:DWORD src1_sel:BYTE_1
	v_lshrrev_b16_e32 v16, 2, v16
	v_mul_lo_u16_e32 v16, 7, v16
	v_sub_u16_e32 v76, v24, v16
	v_and_b32_e32 v16, 0xff, v76
	v_lshlrev_b32_e32 v19, 3, v16
	global_load_dwordx2 v[63:64], v19, s[14:15]
	v_cmp_lt_u16_e64 s[0:1], 6, v72
	v_cndmask_b32_e64 v19, 0, 14, s[0:1]
	v_add_u32_e32 v17, v17, v19
	v_lshl_add_u32 v77, v17, 3, v74
	v_mad_legacy_u16 v17, v22, 14, v23
	v_and_b32_e32 v17, 0xff, v17
	v_lshl_add_u32 v78, v17, 3, v74
	s_waitcnt vmcnt(0) lgkmcnt(0)
	s_barrier
	v_mov_b32_e32 v34, s13
	v_mul_f32_e32 v17, v11, v60
	v_mul_f32_e32 v19, v10, v60
	v_fma_f32 v10, v10, v59, -v17
	v_fmac_f32_e32 v19, v11, v59
	v_sub_f32_e32 v10, v4, v10
	v_sub_f32_e32 v11, v5, v19
	v_fma_f32 v4, v4, 2.0, -v10
	v_fma_f32 v5, v5, 2.0, -v11
	ds_write2_b64 v77, v[4:5], v[10:11] offset1:7
	v_mul_f32_e32 v4, v13, v66
	v_mul_f32_e32 v5, v12, v66
	v_fma_f32 v4, v12, v65, -v4
	v_mul_f32_e32 v10, v15, v62
	v_mul_f32_e32 v11, v14, v62
	v_fmac_f32_e32 v5, v13, v65
	v_fma_f32 v10, v14, v61, -v10
	v_fmac_f32_e32 v11, v15, v61
	v_mul_f32_e32 v12, v3, v64
	v_fma_f32 v12, v2, v63, -v12
	v_mul_f32_e32 v13, v2, v64
	v_sub_f32_e32 v24, v0, v12
	v_fmac_f32_e32 v13, v3, v63
	v_fma_f32 v22, v0, 2.0, -v24
	v_mad_legacy_u16 v0, v27, 14, v18
	v_sub_f32_e32 v2, v6, v4
	v_sub_f32_e32 v3, v7, v5
	;; [unrolled: 1-line block ×5, first 2 shown]
	v_and_b32_e32 v0, 0xff, v0
	v_fma_f32 v6, v6, 2.0, -v2
	v_fma_f32 v7, v7, 2.0, -v3
	;; [unrolled: 1-line block ×5, first 2 shown]
	v_lshl_add_u32 v79, v0, 3, v74
	ds_write2_b64 v78, v[6:7], v[2:3] offset1:7
	ds_write2_b64 v79, v[8:9], v[4:5] offset1:7
	s_and_saveexec_b64 s[0:1], vcc
	s_cbranch_execz .LBB0_5
; %bb.4:
	v_lshl_add_u32 v0, v16, 3, v74
	ds_write2_b64 v0, v[22:23], v[24:25] offset0:70 offset1:77
.LBB0_5:
	s_or_b64 exec, exec, s[0:1]
	s_waitcnt lgkmcnt(0)
	s_barrier
	ds_read2_b64 v[16:19], v73 offset1:14
	ds_read2_b64 v[30:33], v73 offset0:28 offset1:42
	ds_read2_b64 v[26:29], v73 offset0:56 offset1:70
	v_add_co_u32_e64 v69, s[0:1], s12, v20
	v_addc_co_u32_e64 v70, s[0:1], 0, v34, s[0:1]
	v_cmp_gt_u16_e64 s[0:1], 2, v72
                                        ; implicit-def: $vgpr34
                                        ; implicit-def: $vgpr38
	s_and_saveexec_b64 s[2:3], s[0:1]
	s_cbranch_execz .LBB0_7
; %bb.6:
	ds_read2_b64 v[22:25], v73 offset0:12 offset1:26
	ds_read2_b64 v[34:37], v73 offset0:40 offset1:54
	;; [unrolled: 1-line block ×3, first 2 shown]
.LBB0_7:
	s_or_b64 exec, exec, s[2:3]
	v_mad_u64_u32 v[0:1], s[2:3], v72, 40, s[14:15]
	v_add_u32_e32 v2, -2, v72
	v_cndmask_b32_e64 v2, v2, v21, s[0:1]
	global_load_dwordx4 v[12:15], v[0:1], off offset:56
	v_mul_hi_i32_i24_e32 v4, 40, v2
	v_mul_i32_i24_e32 v2, 40, v2
	global_load_dwordx4 v[8:11], v[0:1], off offset:72
	global_load_dwordx2 v[67:68], v[0:1], off offset:88
	v_mov_b32_e32 v3, s15
	v_add_co_u32_e64 v20, s[2:3], s14, v2
	v_addc_co_u32_e64 v21, s[2:3], v3, v4, s[2:3]
	global_load_dwordx4 v[0:3], v[20:21], off offset:56
	global_load_dwordx4 v[4:7], v[20:21], off offset:72
	global_load_dwordx2 v[57:58], v[20:21], off offset:88
	s_waitcnt vmcnt(5) lgkmcnt(1)
	v_mul_f32_e32 v81, v30, v15
	v_mul_f32_e32 v20, v19, v13
	s_waitcnt vmcnt(4)
	v_mul_f32_e32 v82, v33, v9
	s_waitcnt lgkmcnt(0)
	v_mul_f32_e32 v85, v26, v11
	s_waitcnt vmcnt(3)
	v_mul_f32_e32 v86, v29, v68
	v_mul_f32_e32 v80, v31, v15
	;; [unrolled: 1-line block ×5, first 2 shown]
	s_waitcnt vmcnt(2)
	v_mul_f32_e32 v90, v35, v3
	v_fmac_f32_e32 v81, v31, v14
	v_fma_f32 v31, v32, v8, -v82
	v_fmac_f32_e32 v85, v27, v10
	v_fma_f32 v27, v28, v67, -v86
	v_mul_f32_e32 v21, v18, v13
	v_mul_f32_e32 v88, v25, v1
	;; [unrolled: 1-line block ×3, first 2 shown]
	s_waitcnt vmcnt(1)
	v_mul_f32_e32 v95, v38, v7
	v_fma_f32 v30, v30, v14, -v80
	v_fmac_f32_e32 v83, v33, v8
	v_fmac_f32_e32 v87, v29, v67
	v_fma_f32 v18, v18, v12, -v20
	v_fma_f32 v20, v34, v2, -v90
	v_add_f32_e32 v34, v31, v27
	v_mul_f32_e32 v89, v24, v1
	v_mul_f32_e32 v93, v36, v5
	;; [unrolled: 1-line block ×3, first 2 shown]
	v_fma_f32 v26, v26, v10, -v84
	v_fmac_f32_e32 v21, v19, v12
	v_fma_f32 v19, v24, v0, -v88
	v_fmac_f32_e32 v91, v35, v2
	v_fmac_f32_e32 v95, v39, v6
	v_add_f32_e32 v24, v16, v30
	v_add_f32_e32 v33, v18, v31
	v_sub_f32_e32 v35, v83, v87
	v_add_f32_e32 v39, v83, v87
	v_fmac_f32_e32 v18, -0.5, v34
	v_mul_f32_e32 v92, v37, v5
	s_waitcnt vmcnt(0)
	v_mul_f32_e32 v97, v40, v58
	v_fmac_f32_e32 v89, v25, v0
	v_fmac_f32_e32 v93, v37, v4
	v_fma_f32 v37, v38, v6, -v94
	v_add_f32_e32 v25, v30, v26
	v_sub_f32_e32 v30, v30, v26
	v_add_f32_e32 v38, v21, v83
	v_sub_f32_e32 v31, v31, v27
	v_add_f32_e32 v24, v24, v26
	v_add_f32_e32 v26, v33, v27
	v_fmac_f32_e32 v21, -0.5, v39
	v_mov_b32_e32 v33, v18
	v_fmac_f32_e32 v18, 0xbf5db3d7, v35
	v_mul_f32_e32 v96, v41, v58
	v_fmac_f32_e32 v97, v41, v57
	v_sub_f32_e32 v29, v81, v85
	v_fma_f32 v16, -0.5, v25, v16
	v_mov_b32_e32 v34, v21
	v_fmac_f32_e32 v21, 0x3f5db3d7, v31
	v_mul_f32_e32 v41, -0.5, v18
	v_add_f32_e32 v32, v81, v85
	v_add_f32_e32 v27, v38, v87
	v_mov_b32_e32 v38, v16
	v_fmac_f32_e32 v16, 0xbf5db3d7, v29
	v_fmac_f32_e32 v33, 0x3f5db3d7, v35
	;; [unrolled: 1-line block ×3, first 2 shown]
	v_add_f32_e32 v28, v17, v81
	v_fma_f32 v17, -0.5, v32, v17
	v_fmac_f32_e32 v34, 0xbf5db3d7, v31
	v_add_f32_e32 v32, v16, v41
	v_mul_f32_e32 v81, 0xbf5db3d7, v33
	v_sub_f32_e32 v80, v16, v41
	v_add_f32_e32 v16, v22, v20
	v_add_f32_e32 v25, v28, v85
	v_mov_b32_e32 v39, v17
	v_add_f32_e32 v28, v24, v26
	v_mul_f32_e32 v35, 0x3f5db3d7, v34
	v_fmac_f32_e32 v81, 0.5, v34
	v_mul_f32_e32 v21, -0.5, v21
	v_sub_f32_e32 v34, v24, v26
	v_add_f32_e32 v24, v16, v37
	v_add_f32_e32 v16, v20, v37
	v_fmac_f32_e32 v17, 0x3f5db3d7, v30
	v_fmac_f32_e32 v39, 0xbf5db3d7, v30
	;; [unrolled: 1-line block ×3, first 2 shown]
	v_fmac_f32_e32 v22, -0.5, v16
	v_fmac_f32_e32 v35, 0.5, v33
	v_add_f32_e32 v31, v39, v81
	v_add_f32_e32 v33, v17, v21
	v_sub_f32_e32 v39, v39, v81
	v_sub_f32_e32 v81, v17, v21
	;; [unrolled: 1-line block ×3, first 2 shown]
	v_mov_b32_e32 v21, v22
	v_fmac_f32_e32 v38, 0x3f5db3d7, v29
	v_fmac_f32_e32 v21, 0x3f5db3d7, v16
	;; [unrolled: 1-line block ×3, first 2 shown]
	v_add_f32_e32 v16, v23, v91
	v_add_f32_e32 v30, v38, v35
	;; [unrolled: 1-line block ×3, first 2 shown]
	v_sub_f32_e32 v38, v38, v35
	v_sub_f32_e32 v35, v25, v27
	v_add_f32_e32 v25, v16, v95
	v_add_f32_e32 v16, v91, v95
	v_fmac_f32_e32 v23, -0.5, v16
	v_fma_f32 v36, v36, v4, -v92
	v_sub_f32_e32 v16, v20, v37
	v_mov_b32_e32 v41, v23
	v_fma_f32 v40, v40, v57, -v96
	v_fmac_f32_e32 v41, 0xbf5db3d7, v16
	v_fmac_f32_e32 v23, 0x3f5db3d7, v16
	v_add_f32_e32 v16, v19, v36
	v_add_f32_e32 v26, v16, v40
	;; [unrolled: 1-line block ×3, first 2 shown]
	v_fmac_f32_e32 v19, -0.5, v16
	v_sub_f32_e32 v16, v93, v97
	v_mov_b32_e32 v17, v19
	v_fmac_f32_e32 v17, 0x3f5db3d7, v16
	v_fmac_f32_e32 v19, 0xbf5db3d7, v16
	v_add_f32_e32 v16, v89, v93
	v_add_f32_e32 v27, v16, v97
	;; [unrolled: 1-line block ×3, first 2 shown]
	v_fmac_f32_e32 v89, -0.5, v16
	v_sub_f32_e32 v16, v36, v40
	v_mov_b32_e32 v18, v89
	v_fmac_f32_e32 v18, 0xbf5db3d7, v16
	v_fmac_f32_e32 v89, 0x3f5db3d7, v16
	v_mul_f32_e32 v20, 0x3f5db3d7, v18
	v_mul_f32_e32 v40, -0.5, v19
	v_mul_f32_e32 v82, 0xbf5db3d7, v17
	v_mul_f32_e32 v83, -0.5, v89
	v_fmac_f32_e32 v20, 0.5, v17
	v_fmac_f32_e32 v40, 0x3f5db3d7, v89
	v_fmac_f32_e32 v82, 0.5, v18
	v_fmac_f32_e32 v83, 0xbf5db3d7, v19
	v_add_f32_e32 v36, v21, v20
	v_add_f32_e32 v16, v22, v40
	;; [unrolled: 1-line block ×4, first 2 shown]
	v_sub_f32_e32 v18, v24, v26
	v_sub_f32_e32 v20, v21, v20
	;; [unrolled: 1-line block ×6, first 2 shown]
	v_lshl_add_u32 v40, v72, 3, v74
	ds_write_b64 v73, v[28:29]
	ds_write2_b64 v40, v[30:31], v[32:33] offset0:14 offset1:28
	ds_write2_b64 v40, v[34:35], v[38:39] offset0:42 offset1:56
	ds_write_b64 v40, v[80:81] offset:560
	s_and_saveexec_b64 s[2:3], s[0:1]
	s_cbranch_execz .LBB0_9
; %bb.8:
	v_add_f32_e32 v25, v25, v27
	v_add_f32_e32 v24, v24, v26
	ds_write_b64 v73, v[24:25] offset:96
	ds_write2_b64 v40, v[36:37], v[16:17] offset0:26 offset1:40
	ds_write2_b64 v40, v[18:19], v[20:21] offset0:54 offset1:68
	ds_write_b64 v40, v[22:23] offset:656
.LBB0_9:
	s_or_b64 exec, exec, s[2:3]
	s_waitcnt lgkmcnt(0)
	s_barrier
	global_load_dwordx2 v[38:39], v[69:70], off offset:672
	s_add_u32 s2, s12, 0x2a0
	s_addc_u32 s3, s13, 0
	v_lshlrev_b32_e32 v24, 3, v72
	global_load_dwordx2 v[69:70], v24, s[2:3] offset:96
	global_load_dwordx2 v[80:81], v24, s[2:3] offset:192
	;; [unrolled: 1-line block ×6, first 2 shown]
	ds_read2_b64 v[24:27], v73 offset1:12
	ds_read2_b64 v[28:31], v73 offset0:24 offset1:48
	ds_read_b64 v[90:91], v40 offset:288
	ds_read2_b64 v[32:35], v73 offset0:60 offset1:72
	s_mov_b32 s3, 0x3f3bfb3b
	s_mov_b32 s2, 0xbf5ff5aa
	s_waitcnt vmcnt(6) lgkmcnt(3)
	v_mul_f32_e32 v41, v25, v39
	v_mul_f32_e32 v93, v24, v39
	v_fma_f32 v92, v24, v38, -v41
	v_fmac_f32_e32 v93, v25, v38
	s_waitcnt vmcnt(5)
	v_mul_f32_e32 v24, v27, v70
	v_mul_f32_e32 v25, v26, v70
	s_waitcnt vmcnt(4) lgkmcnt(2)
	v_mul_f32_e32 v38, v29, v81
	v_mul_f32_e32 v39, v28, v81
	s_waitcnt vmcnt(3) lgkmcnt(1)
	v_mul_f32_e32 v41, v91, v83
	v_mul_f32_e32 v70, v90, v83
	s_waitcnt vmcnt(2)
	v_mul_f32_e32 v94, v31, v85
	v_mul_f32_e32 v81, v30, v85
	s_waitcnt vmcnt(1) lgkmcnt(0)
	v_mul_f32_e32 v95, v33, v87
	v_mul_f32_e32 v83, v32, v87
	s_waitcnt vmcnt(0)
	v_mul_f32_e32 v87, v35, v89
	v_mul_f32_e32 v85, v34, v89
	v_fma_f32 v24, v26, v69, -v24
	v_fmac_f32_e32 v25, v27, v69
	v_fma_f32 v38, v28, v80, -v38
	v_fmac_f32_e32 v39, v29, v80
	;; [unrolled: 2-line block ×6, first 2 shown]
	ds_write2_b64 v73, v[92:93], v[24:25] offset1:12
	ds_write_b64 v40, v[69:70] offset:288
	ds_write2_b64 v73, v[38:39], v[80:81] offset0:24 offset1:48
	ds_write2_b64 v73, v[82:83], v[84:85] offset0:60 offset1:72
	s_waitcnt lgkmcnt(0)
	s_barrier
	ds_read2_b64 v[24:27], v73 offset1:12
	ds_read2_b64 v[28:31], v73 offset0:60 offset1:72
	ds_read2_b64 v[32:35], v73 offset0:24 offset1:48
	ds_read_b64 v[38:39], v40 offset:288
	s_waitcnt lgkmcnt(0)
	s_barrier
	v_add_f32_e32 v41, v26, v30
	v_sub_f32_e32 v26, v26, v30
	v_add_f32_e32 v30, v32, v28
	v_add_f32_e32 v69, v27, v31
	v_sub_f32_e32 v27, v27, v31
	v_add_f32_e32 v31, v33, v29
	v_sub_f32_e32 v28, v32, v28
	v_add_f32_e32 v32, v38, v34
	v_sub_f32_e32 v34, v34, v38
	v_add_f32_e32 v38, v30, v41
	v_sub_f32_e32 v29, v33, v29
	v_add_f32_e32 v33, v39, v35
	v_sub_f32_e32 v35, v35, v39
	v_add_f32_e32 v39, v31, v69
	v_sub_f32_e32 v70, v30, v41
	v_sub_f32_e32 v41, v41, v32
	v_sub_f32_e32 v30, v32, v30
	v_add_f32_e32 v32, v32, v38
	v_sub_f32_e32 v80, v31, v69
	v_sub_f32_e32 v69, v69, v33
	;; [unrolled: 1-line block ×3, first 2 shown]
	v_add_f32_e32 v33, v33, v39
	v_add_f32_e32 v24, v24, v32
	;; [unrolled: 1-line block ×3, first 2 shown]
	v_mov_b32_e32 v85, v24
	v_add_f32_e32 v81, v34, v28
	v_add_f32_e32 v82, v35, v29
	v_sub_f32_e32 v83, v34, v28
	v_sub_f32_e32 v84, v35, v29
	v_mul_f32_e32 v38, 0x3f4a47b2, v41
	v_mul_f32_e32 v39, 0x3f4a47b2, v69
	;; [unrolled: 1-line block ×4, first 2 shown]
	v_fmac_f32_e32 v85, 0xbf955555, v32
	v_mov_b32_e32 v32, v25
	v_sub_f32_e32 v34, v26, v34
	v_sub_f32_e32 v35, v27, v35
	;; [unrolled: 1-line block ×4, first 2 shown]
	v_add_f32_e32 v26, v81, v26
	v_add_f32_e32 v27, v82, v27
	v_mul_f32_e32 v81, 0x3f08b237, v83
	v_mul_f32_e32 v82, 0x3f08b237, v84
	v_fmac_f32_e32 v32, 0xbf955555, v33
	v_fma_f32 v33, v70, s3, -v41
	v_fma_f32 v41, v80, s3, -v69
	s_mov_b32 s3, 0xbf3bfb3b
	v_mul_f32_e32 v83, 0xbf5ff5aa, v28
	v_mul_f32_e32 v84, 0xbf5ff5aa, v29
	v_fma_f32 v69, v70, s3, -v38
	v_fmac_f32_e32 v38, 0x3d64c772, v30
	v_fma_f32 v30, v80, s3, -v39
	v_fma_f32 v70, v28, s2, -v81
	;; [unrolled: 1-line block ×3, first 2 shown]
	s_mov_b32 s2, 0x3eae86e6
	v_fmac_f32_e32 v39, 0x3d64c772, v31
	v_fmac_f32_e32 v81, 0xbeae86e6, v34
	v_fmac_f32_e32 v82, 0xbeae86e6, v35
	v_fma_f32 v83, v34, s2, -v83
	v_fma_f32 v34, v35, s2, -v84
	v_add_f32_e32 v38, v38, v85
	v_add_f32_e32 v39, v39, v32
	v_add_f32_e32 v33, v33, v85
	v_add_f32_e32 v35, v41, v32
	v_add_f32_e32 v41, v69, v85
	v_add_f32_e32 v69, v30, v32
	v_fmac_f32_e32 v81, 0xbee1c552, v26
	v_fmac_f32_e32 v82, 0xbee1c552, v27
	v_fmac_f32_e32 v70, 0xbee1c552, v26
	v_fmac_f32_e32 v80, 0xbee1c552, v27
	v_fmac_f32_e32 v83, 0xbee1c552, v26
	v_fmac_f32_e32 v34, 0xbee1c552, v27
	v_add_f32_e32 v26, v38, v82
	v_sub_f32_e32 v27, v39, v81
	v_add_f32_e32 v28, v34, v41
	v_sub_f32_e32 v29, v69, v83
	v_sub_f32_e32 v30, v33, v80
	v_add_f32_e32 v31, v70, v35
	v_add_f32_e32 v32, v80, v33
	v_sub_f32_e32 v33, v35, v70
	v_sub_f32_e32 v34, v41, v34
	v_add_f32_e32 v35, v83, v69
	v_sub_f32_e32 v38, v38, v82
	v_add_f32_e32 v39, v81, v39
	ds_write2_b64 v75, v[24:25], v[26:27] offset1:1
	ds_write2_b64 v75, v[28:29], v[30:31] offset0:2 offset1:3
	ds_write2_b64 v75, v[32:33], v[34:35] offset0:4 offset1:5
	ds_write_b64 v75, v[38:39] offset:48
	s_waitcnt lgkmcnt(0)
	s_barrier
	ds_read2_b64 v[28:31], v73 offset1:12
	ds_read2_b64 v[24:27], v73 offset0:24 offset1:42
	ds_read2_b64 v[32:35], v73 offset0:54 offset1:66
	s_and_saveexec_b64 s[2:3], vcc
	s_cbranch_execz .LBB0_11
; %bb.10:
	ds_read_b64 v[38:39], v40 offset:288
	ds_read_b64 v[36:37], v73 offset:624
.LBB0_11:
	s_or_b64 exec, exec, s[2:3]
	s_waitcnt lgkmcnt(1)
	v_mul_f32_e32 v41, v60, v27
	v_fmac_f32_e32 v41, v59, v26
	v_mul_f32_e32 v26, v60, v26
	v_fma_f32 v26, v59, v27, -v26
	s_waitcnt lgkmcnt(0)
	v_mul_f32_e32 v27, v66, v33
	v_fmac_f32_e32 v27, v65, v32
	v_mul_f32_e32 v32, v66, v32
	v_fma_f32 v59, v65, v33, -v32
	v_mul_f32_e32 v60, v62, v35
	v_mul_f32_e32 v32, v62, v34
	v_fmac_f32_e32 v60, v61, v34
	v_fma_f32 v61, v61, v35, -v32
	v_mul_f32_e32 v62, v64, v37
	v_mul_f32_e32 v32, v64, v36
	v_fmac_f32_e32 v62, v63, v36
	v_fma_f32 v63, v63, v37, -v32
	v_sub_f32_e32 v32, v28, v41
	v_sub_f32_e32 v33, v29, v26
	;; [unrolled: 1-line block ×7, first 2 shown]
	v_fma_f32 v28, v28, 2.0, -v32
	v_fma_f32 v29, v29, 2.0, -v33
	v_sub_f32_e32 v35, v31, v59
	v_fma_f32 v59, v24, 2.0, -v36
	v_fma_f32 v60, v25, 2.0, -v37
	;; [unrolled: 1-line block ×6, first 2 shown]
	s_barrier
	ds_write2_b64 v77, v[28:29], v[32:33] offset1:7
	ds_write2_b64 v78, v[30:31], v[34:35] offset1:7
	;; [unrolled: 1-line block ×3, first 2 shown]
	s_and_saveexec_b64 s[2:3], vcc
	s_cbranch_execz .LBB0_13
; %bb.12:
	v_and_b32_e32 v28, 0xff, v76
	v_lshl_add_u32 v28, v28, 3, v74
	ds_write2_b64 v28, v[24:25], v[26:27] offset0:70 offset1:77
.LBB0_13:
	s_or_b64 exec, exec, s[2:3]
	s_waitcnt lgkmcnt(0)
	s_barrier
	ds_read2_b64 v[28:31], v73 offset1:14
	ds_read2_b64 v[36:39], v73 offset0:28 offset1:42
	ds_read2_b64 v[32:35], v73 offset0:56 offset1:70
	s_and_saveexec_b64 s[2:3], s[0:1]
	s_cbranch_execz .LBB0_15
; %bb.14:
	ds_read2_b64 v[24:27], v73 offset0:12 offset1:26
	ds_read2_b64 v[16:19], v73 offset0:40 offset1:54
	;; [unrolled: 1-line block ×3, first 2 shown]
.LBB0_15:
	s_or_b64 exec, exec, s[2:3]
	s_waitcnt lgkmcnt(2)
	v_mul_f32_e32 v41, v13, v31
	v_mul_f32_e32 v13, v13, v30
	v_fmac_f32_e32 v41, v12, v30
	v_fma_f32 v13, v12, v31, -v13
	s_waitcnt lgkmcnt(1)
	v_mul_f32_e32 v12, v15, v37
	v_mul_f32_e32 v15, v15, v36
	v_fmac_f32_e32 v12, v14, v36
	v_fma_f32 v14, v14, v37, -v15
	v_mul_f32_e32 v15, v9, v39
	v_mul_f32_e32 v9, v9, v38
	v_fmac_f32_e32 v15, v8, v38
	v_fma_f32 v8, v8, v39, -v9
	s_waitcnt lgkmcnt(0)
	v_mul_f32_e32 v9, v11, v33
	v_fmac_f32_e32 v9, v10, v32
	v_mul_f32_e32 v11, v11, v32
	v_add_f32_e32 v32, v12, v9
	v_fma_f32 v10, v10, v33, -v11
	v_fma_f32 v32, -0.5, v32, v28
	v_add_f32_e32 v31, v28, v12
	v_sub_f32_e32 v28, v14, v10
	v_mov_b32_e32 v33, v32
	v_mul_f32_e32 v11, v68, v35
	v_fmac_f32_e32 v33, 0xbf5db3d7, v28
	v_fmac_f32_e32 v32, 0x3f5db3d7, v28
	v_add_f32_e32 v28, v29, v14
	v_fmac_f32_e32 v11, v67, v34
	v_mul_f32_e32 v30, v68, v34
	v_add_f32_e32 v34, v28, v10
	v_add_f32_e32 v10, v14, v10
	v_fma_f32 v30, v67, v35, -v30
	v_fma_f32 v35, -0.5, v10, v29
	v_add_f32_e32 v31, v31, v9
	v_sub_f32_e32 v9, v12, v9
	v_mov_b32_e32 v29, v35
	v_fmac_f32_e32 v29, 0x3f5db3d7, v9
	v_fmac_f32_e32 v35, 0xbf5db3d7, v9
	v_add_f32_e32 v9, v41, v15
	v_add_f32_e32 v14, v9, v11
	;; [unrolled: 1-line block ×3, first 2 shown]
	v_fmac_f32_e32 v41, -0.5, v9
	v_sub_f32_e32 v9, v8, v30
	v_mov_b32_e32 v28, v41
	v_fmac_f32_e32 v28, 0xbf5db3d7, v9
	v_fmac_f32_e32 v41, 0x3f5db3d7, v9
	v_add_f32_e32 v9, v13, v8
	v_add_f32_e32 v8, v8, v30
	v_fmac_f32_e32 v13, -0.5, v8
	v_sub_f32_e32 v8, v15, v11
	v_mov_b32_e32 v11, v13
	v_fmac_f32_e32 v11, 0x3f5db3d7, v8
	v_fmac_f32_e32 v13, 0xbf5db3d7, v8
	v_add_f32_e32 v36, v9, v30
	v_mul_f32_e32 v15, 0xbf5db3d7, v11
	v_mul_f32_e32 v30, 0xbf5db3d7, v13
	v_mul_f32_e32 v37, 0.5, v11
	v_mul_f32_e32 v38, -0.5, v13
	v_add_f32_e32 v8, v31, v14
	v_fmac_f32_e32 v15, 0.5, v28
	v_fmac_f32_e32 v30, -0.5, v41
	v_add_f32_e32 v9, v34, v36
	v_fmac_f32_e32 v37, 0x3f5db3d7, v28
	v_fmac_f32_e32 v38, 0x3f5db3d7, v41
	v_add_f32_e32 v10, v33, v15
	v_add_f32_e32 v12, v32, v30
	;; [unrolled: 1-line block ×4, first 2 shown]
	v_sub_f32_e32 v14, v31, v14
	v_sub_f32_e32 v28, v33, v15
	;; [unrolled: 1-line block ×6, first 2 shown]
	ds_write_b64 v73, v[8:9]
	ds_write2_b64 v40, v[10:11], v[12:13] offset0:14 offset1:28
	ds_write2_b64 v40, v[14:15], v[28:29] offset0:42 offset1:56
	ds_write_b64 v40, v[30:31] offset:560
	s_and_saveexec_b64 s[2:3], s[0:1]
	s_cbranch_execz .LBB0_17
; %bb.16:
	v_mul_f32_e32 v13, v5, v19
	v_mul_f32_e32 v14, v58, v23
	;; [unrolled: 1-line block ×3, first 2 shown]
	v_fmac_f32_e32 v13, v4, v18
	v_fmac_f32_e32 v14, v57, v22
	v_mul_f32_e32 v8, v3, v16
	v_mul_f32_e32 v11, v3, v17
	v_fmac_f32_e32 v12, v0, v26
	v_add_f32_e32 v3, v13, v14
	v_fma_f32 v15, -0.5, v3, v12
	v_mul_f32_e32 v3, v5, v18
	v_fma_f32 v4, v4, v19, -v3
	v_mul_f32_e32 v3, v58, v22
	v_fma_f32 v5, v57, v23, -v3
	;; [unrolled: 2-line block ×3, first 2 shown]
	v_add_f32_e32 v1, v4, v5
	v_fma_f32 v8, v2, v17, -v8
	v_mul_f32_e32 v9, v7, v20
	v_fma_f32 v17, -0.5, v1, v0
	v_fma_f32 v9, v6, v21, -v9
	v_sub_f32_e32 v18, v13, v14
	v_mov_b32_e32 v19, v17
	v_add_f32_e32 v10, v8, v9
	v_fmac_f32_e32 v11, v2, v16
	v_mul_f32_e32 v7, v7, v21
	v_sub_f32_e32 v3, v4, v5
	v_mov_b32_e32 v16, v15
	v_fmac_f32_e32 v19, 0xbf5db3d7, v18
	v_fma_f32 v10, -0.5, v10, v25
	v_fmac_f32_e32 v7, v6, v20
	v_fmac_f32_e32 v16, 0x3f5db3d7, v3
	v_mul_f32_e32 v20, -0.5, v19
	v_fmac_f32_e32 v17, 0x3f5db3d7, v18
	v_add_f32_e32 v0, v0, v4
	v_mul_f32_e32 v19, 0xbf5db3d7, v19
	v_sub_f32_e32 v2, v11, v7
	v_mov_b32_e32 v6, v10
	v_fmac_f32_e32 v20, 0x3f5db3d7, v16
	v_fmac_f32_e32 v15, 0xbf5db3d7, v3
	v_mul_f32_e32 v18, 0.5, v17
	v_add_f32_e32 v22, v0, v5
	v_add_f32_e32 v0, v11, v7
	v_fmac_f32_e32 v19, -0.5, v16
	v_mul_f32_e32 v16, 0xbf5db3d7, v17
	v_add_f32_e32 v4, v11, v24
	v_fmac_f32_e32 v6, 0xbf5db3d7, v2
	v_fmac_f32_e32 v10, 0x3f5db3d7, v2
	;; [unrolled: 1-line block ×3, first 2 shown]
	v_add_f32_e32 v2, v8, v25
	v_fma_f32 v23, -0.5, v0, v24
	v_fmac_f32_e32 v16, 0.5, v15
	v_add_f32_e32 v15, v7, v4
	v_add_f32_e32 v4, v12, v13
	;; [unrolled: 1-line block ×3, first 2 shown]
	v_sub_f32_e32 v2, v8, v9
	v_mov_b32_e32 v8, v23
	v_add_f32_e32 v12, v4, v14
	v_sub_f32_e32 v3, v10, v18
	v_fmac_f32_e32 v8, 0x3f5db3d7, v2
	v_fmac_f32_e32 v23, 0xbf5db3d7, v2
	v_add_f32_e32 v9, v10, v18
	v_add_f32_e32 v11, v22, v21
	;; [unrolled: 1-line block ×3, first 2 shown]
	v_sub_f32_e32 v1, v6, v20
	v_sub_f32_e32 v5, v21, v22
	;; [unrolled: 1-line block ×5, first 2 shown]
	v_add_f32_e32 v7, v6, v20
	v_add_f32_e32 v6, v8, v19
	v_add_f32_e32 v8, v23, v16
	ds_write_b64 v73, v[10:11] offset:96
	ds_write2_b64 v40, v[8:9], v[6:7] offset0:26 offset1:40
	ds_write2_b64 v40, v[4:5], v[2:3] offset0:54 offset1:68
	ds_write_b64 v40, v[0:1] offset:656
.LBB0_17:
	s_or_b64 exec, exec, s[2:3]
	s_waitcnt lgkmcnt(0)
	s_barrier
	ds_read2_b64 v[0:3], v73 offset1:12
	v_mad_u64_u32 v[4:5], s[0:1], s10, v42, 0
	s_mov_b32 s0, 0x18618618
	s_mov_b32 s1, 0x3f886186
	s_waitcnt lgkmcnt(0)
	v_mul_f32_e32 v6, v56, v1
	v_fmac_f32_e32 v6, v55, v0
	v_cvt_f64_f32_e32 v[6:7], v6
	v_mul_f32_e32 v0, v56, v0
	v_fma_f32 v0, v55, v1, -v0
	v_cvt_f64_f32_e32 v[0:1], v0
	v_mul_f64 v[6:7], v[6:7], s[0:1]
	v_mad_u64_u32 v[8:9], s[2:3], s8, v72, 0
	v_mul_f64 v[0:1], v[0:1], s[0:1]
	v_mad_u64_u32 v[10:11], s[2:3], s11, v42, v[5:6]
	v_mov_b32_e32 v5, v9
	v_mad_u64_u32 v[11:12], s[2:3], s9, v72, v[5:6]
	v_mov_b32_e32 v5, v10
	v_cvt_f32_f64_e32 v6, v[6:7]
	v_cvt_f32_f64_e32 v7, v[0:1]
	v_lshlrev_b64 v[0:1], 3, v[4:5]
	v_mul_f32_e32 v4, v54, v3
	v_fmac_f32_e32 v4, v53, v2
	v_cvt_f64_f32_e32 v[4:5], v4
	v_mov_b32_e32 v10, s5
	v_mul_f32_e32 v2, v54, v2
	v_add_co_u32_e32 v13, vcc, s4, v0
	v_fma_f32 v2, v53, v3, -v2
	v_addc_co_u32_e32 v14, vcc, v10, v1, vcc
	v_mul_f64 v[0:1], v[4:5], s[0:1]
	v_cvt_f64_f32_e32 v[2:3], v2
	v_mov_b32_e32 v9, v11
	v_lshlrev_b64 v[4:5], 3, v[8:9]
	ds_read_b64 v[10:11], v40 offset:288
	v_mul_f64 v[8:9], v[2:3], s[0:1]
	v_add_co_u32_e32 v4, vcc, v13, v4
	v_addc_co_u32_e32 v5, vcc, v14, v5, vcc
	global_store_dwordx2 v[4:5], v[6:7], off
	v_cvt_f32_f64_e32 v6, v[0:1]
	ds_read2_b64 v[0:3], v73 offset0:24 offset1:48
	v_cvt_f32_f64_e32 v7, v[8:9]
	s_mul_i32 s2, s9, 0x60
	s_mul_hi_u32 s3, s8, 0x60
	s_add_i32 s4, s3, s2
	s_waitcnt lgkmcnt(0)
	v_mul_f32_e32 v8, v52, v1
	v_fmac_f32_e32 v8, v51, v0
	v_mul_f32_e32 v0, v52, v0
	v_fma_f32 v0, v51, v1, -v0
	v_cvt_f64_f32_e32 v[8:9], v8
	v_cvt_f64_f32_e32 v[0:1], v0
	s_mul_i32 s5, s8, 0x60
	v_mov_b32_e32 v12, s4
	v_mul_f64 v[8:9], v[8:9], s[0:1]
	v_mul_f64 v[0:1], v[0:1], s[0:1]
	v_add_co_u32_e32 v4, vcc, s5, v4
	v_addc_co_u32_e32 v5, vcc, v5, v12, vcc
	global_store_dwordx2 v[4:5], v[6:7], off
	v_mul_f32_e32 v6, v48, v11
	v_fmac_f32_e32 v6, v47, v10
	v_cvt_f64_f32_e32 v[6:7], v6
	v_cvt_f32_f64_e32 v8, v[8:9]
	v_cvt_f32_f64_e32 v9, v[0:1]
	v_add_co_u32_e32 v4, vcc, s5, v4
	v_mul_f64 v[0:1], v[6:7], s[0:1]
	v_mul_f32_e32 v6, v48, v10
	v_fma_f32 v6, v47, v11, -v6
	v_cvt_f64_f32_e32 v[6:7], v6
	v_addc_co_u32_e32 v5, vcc, v5, v12, vcc
	global_store_dwordx2 v[4:5], v[8:9], off
	v_mul_f64 v[6:7], v[6:7], s[0:1]
	v_cvt_f32_f64_e32 v0, v[0:1]
	v_mul_f32_e32 v1, v50, v3
	v_fmac_f32_e32 v1, v49, v2
	v_cvt_f64_f32_e32 v[8:9], v1
	v_mul_f32_e32 v1, v50, v2
	v_fma_f32 v1, v49, v3, -v1
	v_cvt_f64_f32_e32 v[2:3], v1
	v_cvt_f32_f64_e32 v1, v[6:7]
	v_mad_u64_u32 v[10:11], s[2:3], s8, v71, 0
	v_mul_f64 v[6:7], v[8:9], s[0:1]
	v_mul_f64 v[8:9], v[2:3], s[0:1]
	v_add_co_u32_e32 v4, vcc, s5, v4
	v_addc_co_u32_e32 v5, vcc, v5, v12, vcc
	global_store_dwordx2 v[4:5], v[0:1], off
	v_mov_b32_e32 v0, v11
	v_mad_u64_u32 v[11:12], s[2:3], s9, v71, v[0:1]
	ds_read2_b64 v[0:3], v73 offset0:60 offset1:72
	v_cvt_f32_f64_e32 v6, v[6:7]
	v_cvt_f32_f64_e32 v7, v[8:9]
	v_lshlrev_b64 v[8:9], 3, v[10:11]
	s_waitcnt lgkmcnt(0)
	v_mul_f32_e32 v10, v46, v1
	v_fmac_f32_e32 v10, v45, v0
	v_cvt_f64_f32_e32 v[10:11], v10
	v_mul_f32_e32 v12, v44, v3
	v_mul_f32_e32 v0, v46, v0
	v_fmac_f32_e32 v12, v43, v2
	v_mul_f32_e32 v2, v44, v2
	v_fma_f32 v0, v45, v1, -v0
	v_fma_f32 v2, v43, v3, -v2
	v_cvt_f64_f32_e32 v[0:1], v0
	v_add_co_u32_e32 v8, vcc, v13, v8
	v_cvt_f64_f32_e32 v[12:13], v12
	v_cvt_f64_f32_e32 v[2:3], v2
	v_mul_f64 v[10:11], v[10:11], s[0:1]
	v_mul_f64 v[0:1], v[0:1], s[0:1]
	;; [unrolled: 1-line block ×4, first 2 shown]
	v_addc_co_u32_e32 v9, vcc, v14, v9, vcc
	global_store_dwordx2 v[8:9], v[6:7], off
	v_cvt_f32_f64_e32 v10, v[10:11]
	v_mov_b32_e32 v11, 0xc0
	v_mad_u64_u32 v[4:5], s[0:1], s8, v11, v[4:5]
	v_cvt_f32_f64_e32 v11, v[0:1]
	v_cvt_f32_f64_e32 v0, v[12:13]
	;; [unrolled: 1-line block ×3, first 2 shown]
	s_mul_i32 s0, s9, 0xc0
	v_add_u32_e32 v5, s0, v5
	v_mov_b32_e32 v3, s4
	v_add_co_u32_e32 v2, vcc, s5, v4
	v_addc_co_u32_e32 v3, vcc, v5, v3, vcc
	global_store_dwordx2 v[4:5], v[10:11], off
	global_store_dwordx2 v[2:3], v[0:1], off
.LBB0_18:
	s_endpgm
	.section	.rodata,"a",@progbits
	.p2align	6, 0x0
	.amdhsa_kernel bluestein_single_fwd_len84_dim1_sp_op_CI_CI
		.amdhsa_group_segment_fixed_size 6720
		.amdhsa_private_segment_fixed_size 0
		.amdhsa_kernarg_size 104
		.amdhsa_user_sgpr_count 6
		.amdhsa_user_sgpr_private_segment_buffer 1
		.amdhsa_user_sgpr_dispatch_ptr 0
		.amdhsa_user_sgpr_queue_ptr 0
		.amdhsa_user_sgpr_kernarg_segment_ptr 1
		.amdhsa_user_sgpr_dispatch_id 0
		.amdhsa_user_sgpr_flat_scratch_init 0
		.amdhsa_user_sgpr_private_segment_size 0
		.amdhsa_uses_dynamic_stack 0
		.amdhsa_system_sgpr_private_segment_wavefront_offset 0
		.amdhsa_system_sgpr_workgroup_id_x 1
		.amdhsa_system_sgpr_workgroup_id_y 0
		.amdhsa_system_sgpr_workgroup_id_z 0
		.amdhsa_system_sgpr_workgroup_info 0
		.amdhsa_system_vgpr_workitem_id 0
		.amdhsa_next_free_vgpr 98
		.amdhsa_next_free_sgpr 20
		.amdhsa_reserve_vcc 1
		.amdhsa_reserve_flat_scratch 0
		.amdhsa_float_round_mode_32 0
		.amdhsa_float_round_mode_16_64 0
		.amdhsa_float_denorm_mode_32 3
		.amdhsa_float_denorm_mode_16_64 3
		.amdhsa_dx10_clamp 1
		.amdhsa_ieee_mode 1
		.amdhsa_fp16_overflow 0
		.amdhsa_exception_fp_ieee_invalid_op 0
		.amdhsa_exception_fp_denorm_src 0
		.amdhsa_exception_fp_ieee_div_zero 0
		.amdhsa_exception_fp_ieee_overflow 0
		.amdhsa_exception_fp_ieee_underflow 0
		.amdhsa_exception_fp_ieee_inexact 0
		.amdhsa_exception_int_div_zero 0
	.end_amdhsa_kernel
	.text
.Lfunc_end0:
	.size	bluestein_single_fwd_len84_dim1_sp_op_CI_CI, .Lfunc_end0-bluestein_single_fwd_len84_dim1_sp_op_CI_CI
                                        ; -- End function
	.section	.AMDGPU.csdata,"",@progbits
; Kernel info:
; codeLenInByte = 5712
; NumSgprs: 24
; NumVgprs: 98
; ScratchSize: 0
; MemoryBound: 0
; FloatMode: 240
; IeeeMode: 1
; LDSByteSize: 6720 bytes/workgroup (compile time only)
; SGPRBlocks: 2
; VGPRBlocks: 24
; NumSGPRsForWavesPerEU: 24
; NumVGPRsForWavesPerEU: 98
; Occupancy: 2
; WaveLimiterHint : 1
; COMPUTE_PGM_RSRC2:SCRATCH_EN: 0
; COMPUTE_PGM_RSRC2:USER_SGPR: 6
; COMPUTE_PGM_RSRC2:TRAP_HANDLER: 0
; COMPUTE_PGM_RSRC2:TGID_X_EN: 1
; COMPUTE_PGM_RSRC2:TGID_Y_EN: 0
; COMPUTE_PGM_RSRC2:TGID_Z_EN: 0
; COMPUTE_PGM_RSRC2:TIDIG_COMP_CNT: 0
	.type	__hip_cuid_9cf4fe880a37f0d7,@object ; @__hip_cuid_9cf4fe880a37f0d7
	.section	.bss,"aw",@nobits
	.globl	__hip_cuid_9cf4fe880a37f0d7
__hip_cuid_9cf4fe880a37f0d7:
	.byte	0                               ; 0x0
	.size	__hip_cuid_9cf4fe880a37f0d7, 1

	.ident	"AMD clang version 19.0.0git (https://github.com/RadeonOpenCompute/llvm-project roc-6.4.0 25133 c7fe45cf4b819c5991fe208aaa96edf142730f1d)"
	.section	".note.GNU-stack","",@progbits
	.addrsig
	.addrsig_sym __hip_cuid_9cf4fe880a37f0d7
	.amdgpu_metadata
---
amdhsa.kernels:
  - .args:
      - .actual_access:  read_only
        .address_space:  global
        .offset:         0
        .size:           8
        .value_kind:     global_buffer
      - .actual_access:  read_only
        .address_space:  global
        .offset:         8
        .size:           8
        .value_kind:     global_buffer
      - .actual_access:  read_only
        .address_space:  global
        .offset:         16
        .size:           8
        .value_kind:     global_buffer
      - .actual_access:  read_only
        .address_space:  global
        .offset:         24
        .size:           8
        .value_kind:     global_buffer
      - .actual_access:  read_only
        .address_space:  global
        .offset:         32
        .size:           8
        .value_kind:     global_buffer
      - .offset:         40
        .size:           8
        .value_kind:     by_value
      - .address_space:  global
        .offset:         48
        .size:           8
        .value_kind:     global_buffer
      - .address_space:  global
        .offset:         56
        .size:           8
        .value_kind:     global_buffer
      - .address_space:  global
        .offset:         64
        .size:           8
        .value_kind:     global_buffer
      - .address_space:  global
        .offset:         72
        .size:           8
        .value_kind:     global_buffer
      - .offset:         80
        .size:           4
        .value_kind:     by_value
      - .address_space:  global
        .offset:         88
        .size:           8
        .value_kind:     global_buffer
      - .address_space:  global
        .offset:         96
        .size:           8
        .value_kind:     global_buffer
    .group_segment_fixed_size: 6720
    .kernarg_segment_align: 8
    .kernarg_segment_size: 104
    .language:       OpenCL C
    .language_version:
      - 2
      - 0
    .max_flat_workgroup_size: 120
    .name:           bluestein_single_fwd_len84_dim1_sp_op_CI_CI
    .private_segment_fixed_size: 0
    .sgpr_count:     24
    .sgpr_spill_count: 0
    .symbol:         bluestein_single_fwd_len84_dim1_sp_op_CI_CI.kd
    .uniform_work_group_size: 1
    .uses_dynamic_stack: false
    .vgpr_count:     98
    .vgpr_spill_count: 0
    .wavefront_size: 64
amdhsa.target:   amdgcn-amd-amdhsa--gfx906
amdhsa.version:
  - 1
  - 2
...

	.end_amdgpu_metadata
